;; amdgpu-corpus repo=ROCm/rocFFT kind=compiled arch=gfx906 opt=O3
	.text
	.amdgcn_target "amdgcn-amd-amdhsa--gfx906"
	.amdhsa_code_object_version 6
	.protected	fft_rtc_fwd_len1344_factors_2_2_2_2_2_2_3_7_wgs_224_tpt_224_halfLds_sp_op_CI_CI_sbrr_dirReg ; -- Begin function fft_rtc_fwd_len1344_factors_2_2_2_2_2_2_3_7_wgs_224_tpt_224_halfLds_sp_op_CI_CI_sbrr_dirReg
	.globl	fft_rtc_fwd_len1344_factors_2_2_2_2_2_2_3_7_wgs_224_tpt_224_halfLds_sp_op_CI_CI_sbrr_dirReg
	.p2align	8
	.type	fft_rtc_fwd_len1344_factors_2_2_2_2_2_2_3_7_wgs_224_tpt_224_halfLds_sp_op_CI_CI_sbrr_dirReg,@function
fft_rtc_fwd_len1344_factors_2_2_2_2_2_2_3_7_wgs_224_tpt_224_halfLds_sp_op_CI_CI_sbrr_dirReg: ; @fft_rtc_fwd_len1344_factors_2_2_2_2_2_2_3_7_wgs_224_tpt_224_halfLds_sp_op_CI_CI_sbrr_dirReg
; %bb.0:
	s_load_dwordx4 s[16:19], s[4:5], 0x18
	s_load_dwordx4 s[12:15], s[4:5], 0x0
	;; [unrolled: 1-line block ×3, first 2 shown]
	v_mul_u32_u24_e32 v1, 0x125, v0
	v_mov_b32_e32 v7, 0
	s_waitcnt lgkmcnt(0)
	s_load_dwordx2 s[2:3], s[16:17], 0x0
	s_load_dwordx2 s[20:21], s[18:19], 0x0
	v_cmp_lt_u64_e64 s[0:1], s[14:15], 2
	v_mov_b32_e32 v5, 0
	v_add_u32_sdwa v9, s6, v1 dst_sel:DWORD dst_unused:UNUSED_PAD src0_sel:DWORD src1_sel:WORD_1
	v_mov_b32_e32 v10, v7
	s_and_b64 vcc, exec, s[0:1]
	v_mov_b32_e32 v6, 0
	s_cbranch_vccnz .LBB0_8
; %bb.1:
	s_load_dwordx2 s[0:1], s[4:5], 0x10
	s_add_u32 s6, s18, 8
	s_addc_u32 s7, s19, 0
	s_add_u32 s22, s16, 8
	s_addc_u32 s23, s17, 0
	v_mov_b32_e32 v5, 0
	s_waitcnt lgkmcnt(0)
	s_add_u32 s24, s0, 8
	v_mov_b32_e32 v6, 0
	v_mov_b32_e32 v1, v5
	s_addc_u32 s25, s1, 0
	s_mov_b64 s[26:27], 1
	v_mov_b32_e32 v2, v6
.LBB0_2:                                ; =>This Inner Loop Header: Depth=1
	s_load_dwordx2 s[28:29], s[24:25], 0x0
                                        ; implicit-def: $vgpr3_vgpr4
	s_waitcnt lgkmcnt(0)
	v_or_b32_e32 v8, s29, v10
	v_cmp_ne_u64_e32 vcc, 0, v[7:8]
	s_and_saveexec_b64 s[0:1], vcc
	s_xor_b64 s[30:31], exec, s[0:1]
	s_cbranch_execz .LBB0_4
; %bb.3:                                ;   in Loop: Header=BB0_2 Depth=1
	v_cvt_f32_u32_e32 v3, s28
	v_cvt_f32_u32_e32 v4, s29
	s_sub_u32 s0, 0, s28
	s_subb_u32 s1, 0, s29
	v_mac_f32_e32 v3, 0x4f800000, v4
	v_rcp_f32_e32 v3, v3
	v_mul_f32_e32 v3, 0x5f7ffffc, v3
	v_mul_f32_e32 v4, 0x2f800000, v3
	v_trunc_f32_e32 v4, v4
	v_mac_f32_e32 v3, 0xcf800000, v4
	v_cvt_u32_f32_e32 v4, v4
	v_cvt_u32_f32_e32 v3, v3
	v_mul_lo_u32 v8, s0, v4
	v_mul_hi_u32 v11, s0, v3
	v_mul_lo_u32 v13, s1, v3
	v_mul_lo_u32 v12, s0, v3
	v_add_u32_e32 v8, v11, v8
	v_add_u32_e32 v8, v8, v13
	v_mul_hi_u32 v11, v3, v12
	v_mul_lo_u32 v13, v3, v8
	v_mul_hi_u32 v15, v3, v8
	v_mul_hi_u32 v14, v4, v12
	v_mul_lo_u32 v12, v4, v12
	v_mul_hi_u32 v16, v4, v8
	v_add_co_u32_e32 v11, vcc, v11, v13
	v_addc_co_u32_e32 v13, vcc, 0, v15, vcc
	v_mul_lo_u32 v8, v4, v8
	v_add_co_u32_e32 v11, vcc, v11, v12
	v_addc_co_u32_e32 v11, vcc, v13, v14, vcc
	v_addc_co_u32_e32 v12, vcc, 0, v16, vcc
	v_add_co_u32_e32 v8, vcc, v11, v8
	v_addc_co_u32_e32 v11, vcc, 0, v12, vcc
	v_add_co_u32_e32 v3, vcc, v3, v8
	v_addc_co_u32_e32 v4, vcc, v4, v11, vcc
	v_mul_lo_u32 v8, s0, v4
	v_mul_hi_u32 v11, s0, v3
	v_mul_lo_u32 v12, s1, v3
	v_mul_lo_u32 v13, s0, v3
	v_add_u32_e32 v8, v11, v8
	v_add_u32_e32 v8, v8, v12
	v_mul_lo_u32 v14, v3, v8
	v_mul_hi_u32 v15, v3, v13
	v_mul_hi_u32 v16, v3, v8
	;; [unrolled: 1-line block ×3, first 2 shown]
	v_mul_lo_u32 v13, v4, v13
	v_mul_hi_u32 v11, v4, v8
	v_add_co_u32_e32 v14, vcc, v15, v14
	v_addc_co_u32_e32 v15, vcc, 0, v16, vcc
	v_mul_lo_u32 v8, v4, v8
	v_add_co_u32_e32 v13, vcc, v14, v13
	v_addc_co_u32_e32 v12, vcc, v15, v12, vcc
	v_addc_co_u32_e32 v11, vcc, 0, v11, vcc
	v_add_co_u32_e32 v8, vcc, v12, v8
	v_addc_co_u32_e32 v11, vcc, 0, v11, vcc
	v_add_co_u32_e32 v8, vcc, v3, v8
	v_addc_co_u32_e32 v11, vcc, v4, v11, vcc
	v_mad_u64_u32 v[3:4], s[0:1], v9, v11, 0
	v_mul_hi_u32 v12, v9, v8
	v_add_co_u32_e32 v13, vcc, v12, v3
	v_addc_co_u32_e32 v14, vcc, 0, v4, vcc
	v_mad_u64_u32 v[3:4], s[0:1], v10, v8, 0
	v_mad_u64_u32 v[11:12], s[0:1], v10, v11, 0
	v_add_co_u32_e32 v3, vcc, v13, v3
	v_addc_co_u32_e32 v3, vcc, v14, v4, vcc
	v_addc_co_u32_e32 v4, vcc, 0, v12, vcc
	v_add_co_u32_e32 v8, vcc, v3, v11
	v_addc_co_u32_e32 v11, vcc, 0, v4, vcc
	v_mul_lo_u32 v12, s29, v8
	v_mul_lo_u32 v13, s28, v11
	v_mad_u64_u32 v[3:4], s[0:1], s28, v8, 0
	v_add3_u32 v4, v4, v13, v12
	v_sub_u32_e32 v12, v10, v4
	v_mov_b32_e32 v13, s29
	v_sub_co_u32_e32 v3, vcc, v9, v3
	v_subb_co_u32_e64 v12, s[0:1], v12, v13, vcc
	v_subrev_co_u32_e64 v13, s[0:1], s28, v3
	v_subbrev_co_u32_e64 v12, s[0:1], 0, v12, s[0:1]
	v_cmp_le_u32_e64 s[0:1], s29, v12
	v_cndmask_b32_e64 v14, 0, -1, s[0:1]
	v_cmp_le_u32_e64 s[0:1], s28, v13
	v_cndmask_b32_e64 v13, 0, -1, s[0:1]
	v_cmp_eq_u32_e64 s[0:1], s29, v12
	v_cndmask_b32_e64 v12, v14, v13, s[0:1]
	v_add_co_u32_e64 v13, s[0:1], 2, v8
	v_addc_co_u32_e64 v14, s[0:1], 0, v11, s[0:1]
	v_add_co_u32_e64 v15, s[0:1], 1, v8
	v_addc_co_u32_e64 v16, s[0:1], 0, v11, s[0:1]
	v_subb_co_u32_e32 v4, vcc, v10, v4, vcc
	v_cmp_ne_u32_e64 s[0:1], 0, v12
	v_cmp_le_u32_e32 vcc, s29, v4
	v_cndmask_b32_e64 v12, v16, v14, s[0:1]
	v_cndmask_b32_e64 v14, 0, -1, vcc
	v_cmp_le_u32_e32 vcc, s28, v3
	v_cndmask_b32_e64 v3, 0, -1, vcc
	v_cmp_eq_u32_e32 vcc, s29, v4
	v_cndmask_b32_e32 v3, v14, v3, vcc
	v_cmp_ne_u32_e32 vcc, 0, v3
	v_cndmask_b32_e64 v3, v15, v13, s[0:1]
	v_cndmask_b32_e32 v4, v11, v12, vcc
	v_cndmask_b32_e32 v3, v8, v3, vcc
.LBB0_4:                                ;   in Loop: Header=BB0_2 Depth=1
	s_andn2_saveexec_b64 s[0:1], s[30:31]
	s_cbranch_execz .LBB0_6
; %bb.5:                                ;   in Loop: Header=BB0_2 Depth=1
	v_cvt_f32_u32_e32 v3, s28
	s_sub_i32 s30, 0, s28
	v_rcp_iflag_f32_e32 v3, v3
	v_mul_f32_e32 v3, 0x4f7ffffe, v3
	v_cvt_u32_f32_e32 v3, v3
	v_mul_lo_u32 v4, s30, v3
	v_mul_hi_u32 v4, v3, v4
	v_add_u32_e32 v3, v3, v4
	v_mul_hi_u32 v3, v9, v3
	v_mul_lo_u32 v4, v3, s28
	v_add_u32_e32 v8, 1, v3
	v_sub_u32_e32 v4, v9, v4
	v_subrev_u32_e32 v11, s28, v4
	v_cmp_le_u32_e32 vcc, s28, v4
	v_cndmask_b32_e32 v4, v4, v11, vcc
	v_cndmask_b32_e32 v3, v3, v8, vcc
	v_add_u32_e32 v8, 1, v3
	v_cmp_le_u32_e32 vcc, s28, v4
	v_cndmask_b32_e32 v3, v3, v8, vcc
	v_mov_b32_e32 v4, v7
.LBB0_6:                                ;   in Loop: Header=BB0_2 Depth=1
	s_or_b64 exec, exec, s[0:1]
	v_mul_lo_u32 v8, v4, s28
	v_mul_lo_u32 v13, v3, s29
	v_mad_u64_u32 v[11:12], s[0:1], v3, s28, 0
	s_load_dwordx2 s[0:1], s[22:23], 0x0
	s_load_dwordx2 s[28:29], s[6:7], 0x0
	v_add3_u32 v8, v12, v13, v8
	v_sub_co_u32_e32 v9, vcc, v9, v11
	v_subb_co_u32_e32 v8, vcc, v10, v8, vcc
	s_waitcnt lgkmcnt(0)
	v_mul_lo_u32 v10, s0, v8
	v_mul_lo_u32 v11, s1, v9
	v_mad_u64_u32 v[5:6], s[0:1], s0, v9, v[5:6]
	v_mul_lo_u32 v8, s28, v8
	v_mul_lo_u32 v12, s29, v9
	v_mad_u64_u32 v[1:2], s[0:1], s28, v9, v[1:2]
	s_add_u32 s26, s26, 1
	s_addc_u32 s27, s27, 0
	s_add_u32 s6, s6, 8
	v_add3_u32 v2, v12, v2, v8
	s_addc_u32 s7, s7, 0
	v_mov_b32_e32 v8, s14
	s_add_u32 s22, s22, 8
	v_mov_b32_e32 v9, s15
	s_addc_u32 s23, s23, 0
	v_cmp_ge_u64_e32 vcc, s[26:27], v[8:9]
	s_add_u32 s24, s24, 8
	v_add3_u32 v6, v11, v6, v10
	s_addc_u32 s25, s25, 0
	s_cbranch_vccnz .LBB0_9
; %bb.7:                                ;   in Loop: Header=BB0_2 Depth=1
	v_mov_b32_e32 v10, v4
	v_mov_b32_e32 v9, v3
	s_branch .LBB0_2
.LBB0_8:
	v_mov_b32_e32 v1, v5
	v_mov_b32_e32 v3, v9
	;; [unrolled: 1-line block ×4, first 2 shown]
.LBB0_9:
	s_load_dwordx2 s[0:1], s[4:5], 0x28
	s_lshl_b64 s[14:15], s[14:15], 3
	s_add_u32 s4, s18, s14
	s_addc_u32 s5, s19, s15
                                        ; implicit-def: $sgpr18_sgpr19
                                        ; implicit-def: $vgpr18
                                        ; implicit-def: $vgpr19
                                        ; implicit-def: $vgpr20
	s_waitcnt lgkmcnt(0)
	v_cmp_gt_u64_e32 vcc, s[0:1], v[3:4]
	v_cmp_le_u64_e64 s[0:1], s[0:1], v[3:4]
	s_and_saveexec_b64 s[6:7], s[0:1]
	s_xor_b64 s[0:1], exec, s[6:7]
; %bb.10:
	s_mov_b32 s6, 0x124924a
	v_mul_hi_u32 v5, v0, s6
	s_mov_b64 s[18:19], 0
	v_mul_u32_u24_e32 v5, 0xe0, v5
	v_sub_u32_e32 v18, v0, v5
	v_add_u32_e32 v19, 0xe0, v18
	v_add_u32_e32 v20, 0x1c0, v18
                                        ; implicit-def: $vgpr0
                                        ; implicit-def: $vgpr5_vgpr6
; %bb.11:
	s_or_saveexec_b64 s[6:7], s[0:1]
	v_mov_b32_e32 v10, s18
	v_mov_b32_e32 v16, s18
	;; [unrolled: 1-line block ×6, first 2 shown]
                                        ; implicit-def: $vgpr13
                                        ; implicit-def: $vgpr7
                                        ; implicit-def: $vgpr15
	s_xor_b64 exec, exec, s[6:7]
	s_cbranch_execz .LBB0_13
; %bb.12:
	s_add_u32 s0, s16, s14
	s_mov_b32 s14, 0x124924a
	v_mul_hi_u32 v7, v0, s14
	s_addc_u32 s1, s17, s15
	s_load_dwordx2 s[0:1], s[0:1], 0x0
	v_lshlrev_b64 v[5:6], 3, v[5:6]
	v_mul_u32_u24_e32 v7, 0xe0, v7
	v_sub_u32_e32 v18, v0, v7
	v_mad_u64_u32 v[7:8], s[14:15], s2, v18, 0
	s_waitcnt lgkmcnt(0)
	v_mul_lo_u32 v13, s1, v3
	v_mul_lo_u32 v14, s0, v4
	v_mad_u64_u32 v[9:10], s[0:1], s0, v3, 0
	v_mov_b32_e32 v0, v8
	v_mad_u64_u32 v[11:12], s[0:1], s3, v18, v[0:1]
	v_add3_u32 v10, v10, v14, v13
	v_lshlrev_b64 v[9:10], 3, v[9:10]
	v_mov_b32_e32 v8, v11
	v_mov_b32_e32 v0, s9
	v_add_co_u32_e64 v11, s[0:1], s8, v9
	v_add_u32_e32 v12, 0x2a0, v18
	v_addc_co_u32_e64 v0, s[0:1], v0, v10, s[0:1]
	v_mad_u64_u32 v[9:10], s[0:1], s2, v12, 0
	v_add_co_u32_e64 v29, s[0:1], v11, v5
	v_addc_co_u32_e64 v30, s[0:1], v0, v6, s[0:1]
	v_mov_b32_e32 v0, v10
	v_add_u32_e32 v19, 0xe0, v18
	v_lshlrev_b64 v[5:6], 3, v[7:8]
	v_mad_u64_u32 v[7:8], s[0:1], s3, v12, v[0:1]
	v_mad_u64_u32 v[11:12], s[0:1], s2, v19, 0
	v_add_co_u32_e64 v5, s[0:1], v29, v5
	v_mov_b32_e32 v10, v7
	v_mov_b32_e32 v0, v12
	v_add_u32_e32 v15, 0x380, v18
	v_addc_co_u32_e64 v6, s[0:1], v30, v6, s[0:1]
	v_lshlrev_b64 v[7:8], 3, v[9:10]
	v_mad_u64_u32 v[9:10], s[0:1], s3, v19, v[0:1]
	v_mad_u64_u32 v[13:14], s[0:1], s2, v15, 0
	v_add_co_u32_e64 v7, s[0:1], v29, v7
	v_mov_b32_e32 v12, v9
	v_mov_b32_e32 v0, v14
	v_add_u32_e32 v20, 0x1c0, v18
	v_addc_co_u32_e64 v8, s[0:1], v30, v8, s[0:1]
	v_lshlrev_b64 v[9:10], 3, v[11:12]
	v_mad_u64_u32 v[11:12], s[0:1], s3, v15, v[0:1]
	v_mad_u64_u32 v[15:16], s[0:1], s2, v20, 0
	v_add_co_u32_e64 v21, s[0:1], v29, v9
	v_mov_b32_e32 v0, v16
	v_addc_co_u32_e64 v22, s[0:1], v30, v10, s[0:1]
	v_mov_b32_e32 v14, v11
	v_mad_u64_u32 v[11:12], s[0:1], s3, v20, v[0:1]
	v_add_u32_e32 v12, 0x460, v18
	v_mad_u64_u32 v[23:24], s[0:1], s2, v12, 0
	v_lshlrev_b64 v[9:10], 3, v[13:14]
	v_mov_b32_e32 v16, v11
	v_add_co_u32_e64 v25, s[0:1], v29, v9
	v_mov_b32_e32 v0, v24
	v_addc_co_u32_e64 v26, s[0:1], v30, v10, s[0:1]
	v_mad_u64_u32 v[11:12], s[0:1], s3, v12, v[0:1]
	v_lshlrev_b64 v[9:10], 3, v[15:16]
	v_add_co_u32_e64 v27, s[0:1], v29, v9
	v_mov_b32_e32 v24, v11
	v_addc_co_u32_e64 v28, s[0:1], v30, v10, s[0:1]
	global_load_dwordx2 v[10:11], v[5:6], off
	global_load_dwordx2 v[12:13], v[7:8], off
	;; [unrolled: 1-line block ×4, first 2 shown]
	v_lshlrev_b64 v[5:6], 3, v[23:24]
	v_add_co_u32_e64 v21, s[0:1], v29, v5
	v_addc_co_u32_e64 v22, s[0:1], v30, v6, s[0:1]
	global_load_dwordx2 v[8:9], v[27:28], off
	global_load_dwordx2 v[6:7], v[21:22], off
.LBB0_13:
	s_or_b64 exec, exec, s[6:7]
	s_waitcnt vmcnt(4)
	v_sub_f32_e32 v22, v10, v12
	v_sub_f32_e32 v24, v11, v13
	v_fma_f32 v21, v10, 2.0, -v22
	v_fma_f32 v23, v11, 2.0, -v24
	s_waitcnt vmcnt(2)
	v_sub_f32_e32 v11, v16, v14
	v_sub_f32_e32 v14, v17, v15
	v_lshl_add_u32 v0, v18, 3, 0
	s_waitcnt vmcnt(0)
	v_sub_f32_e32 v6, v8, v6
	v_fma_f32 v10, v16, 2.0, -v11
	v_fma_f32 v13, v17, 2.0, -v14
	ds_write_b64 v0, v[21:22]
	v_fma_f32 v5, v8, 2.0, -v6
	v_lshl_add_u32 v17, v19, 3, 0
	v_lshl_add_u32 v21, v20, 3, 0
	ds_write_b64 v17, v[10:11]
	ds_write_b64 v21, v[5:6]
	v_lshlrev_b32_e32 v5, 2, v19
	v_lshlrev_b32_e32 v12, 2, v18
	v_sub_u32_e32 v8, v17, v5
	v_lshlrev_b32_e32 v5, 2, v20
	v_sub_u32_e32 v10, v21, v5
	v_sub_u32_e32 v6, v0, v12
	s_load_dwordx2 s[4:5], s[4:5], 0x0
	s_waitcnt lgkmcnt(0)
	s_barrier
	ds_read_b32 v25, v6
	v_add_u32_e32 v11, 0xa80, v6
	ds_read_b32 v26, v10
	ds_read_b32 v27, v8
	ds_read_b32 v28, v6 offset:4480
	ds_read2_b32 v[15:16], v11 offset1:224
	s_waitcnt lgkmcnt(0)
	s_barrier
	ds_write_b64 v0, v[23:24]
	ds_write_b64 v17, v[13:14]
	v_sub_f32_e32 v14, v9, v7
	v_and_b32_e32 v17, 1, v18
	v_fma_f32 v13, v9, 2.0, -v14
	v_lshlrev_b32_e32 v5, 3, v17
	ds_write_b64 v21, v[13:14]
	s_waitcnt lgkmcnt(0)
	s_barrier
	global_load_dwordx2 v[13:14], v5, s[12:13]
	ds_read2_b32 v[21:22], v11 offset1:224
	ds_read_b32 v23, v6 offset:4480
	s_movk_i32 s0, 0x1fc
	v_lshlrev_b32_e32 v5, 1, v18
	s_movk_i32 s1, 0x3fc
	v_lshlrev_b32_e32 v7, 1, v19
	v_lshlrev_b32_e32 v9, 1, v20
	s_movk_i32 s2, 0x7fc
	v_and_or_b32 v20, v5, s0, v17
	s_movk_i32 s0, 0x1f8
	v_sub_u32_e32 v12, 0, v12
	s_waitcnt vmcnt(0) lgkmcnt(1)
	v_mul_f32_e32 v24, v21, v14
	v_mul_f32_e32 v29, v22, v14
	;; [unrolled: 1-line block ×4, first 2 shown]
	v_fma_f32 v15, v15, v13, -v24
	v_fma_f32 v16, v16, v13, -v29
	ds_read_b32 v24, v10
	ds_read_b32 v29, v8
	v_fmac_f32_e32 v30, v21, v13
	ds_read_b32 v21, v6
	v_fmac_f32_e32 v31, v22, v13
	s_waitcnt lgkmcnt(3)
	v_mul_f32_e32 v22, v23, v14
	v_fma_f32 v22, v28, v13, -v22
	v_mul_f32_e32 v28, v28, v14
	v_fmac_f32_e32 v28, v23, v13
	v_and_or_b32 v13, v7, s1, v17
	v_and_or_b32 v14, v9, s2, v17
	v_lshl_add_u32 v17, v20, 2, 0
	v_lshl_add_u32 v20, v13, 2, 0
	v_sub_f32_e32 v13, v25, v15
	v_lshl_add_u32 v23, v14, 2, 0
	v_sub_f32_e32 v14, v27, v16
	v_sub_f32_e32 v15, v26, v22
	s_waitcnt lgkmcnt(0)
	v_sub_f32_e32 v16, v21, v30
	v_fma_f32 v22, v25, 2.0, -v13
	s_barrier
	v_fma_f32 v25, v27, 2.0, -v14
	v_fma_f32 v26, v26, 2.0, -v15
	ds_write2_b32 v17, v22, v13 offset1:2
	ds_write2_b32 v20, v25, v14 offset1:2
	;; [unrolled: 1-line block ×3, first 2 shown]
	v_fma_f32 v15, v21, 2.0, -v16
	s_waitcnt lgkmcnt(0)
	s_barrier
	ds_read_b32 v22, v6
	ds_read_b32 v25, v10
	;; [unrolled: 1-line block ×3, first 2 shown]
	ds_read_b32 v27, v6 offset:4480
	ds_read2_b32 v[13:14], v11 offset1:224
	s_waitcnt lgkmcnt(0)
	s_barrier
	ds_write2_b32 v17, v15, v16 offset1:2
	v_sub_f32_e32 v15, v29, v31
	v_fma_f32 v16, v29, 2.0, -v15
	ds_write2_b32 v20, v16, v15 offset1:2
	v_sub_f32_e32 v15, v24, v28
	v_fma_f32 v16, v24, 2.0, -v15
	v_and_b32_e32 v17, 3, v18
	ds_write2_b32 v23, v16, v15 offset1:2
	v_lshlrev_b32_e32 v15, 3, v17
	s_waitcnt lgkmcnt(0)
	s_barrier
	global_load_dwordx2 v[15:16], v15, s[12:13] offset:16
	ds_read2_b32 v[20:21], v11 offset1:224
	ds_read_b32 v24, v6 offset:4480
	s_movk_i32 s1, 0x3f8
	s_movk_i32 s2, 0x7f8
	v_and_or_b32 v23, v5, s0, v17
	v_lshl_add_u32 v23, v23, 2, 0
	s_movk_i32 s0, 0x1f0
	s_waitcnt vmcnt(0) lgkmcnt(1)
	v_mul_f32_e32 v28, v20, v16
	v_mul_f32_e32 v29, v21, v16
	;; [unrolled: 1-line block ×4, first 2 shown]
	v_fma_f32 v13, v13, v15, -v28
	v_fma_f32 v14, v14, v15, -v29
	ds_read_b32 v28, v10
	ds_read_b32 v29, v8
	v_fmac_f32_e32 v30, v20, v15
	ds_read_b32 v20, v6
	v_fmac_f32_e32 v31, v21, v15
	s_waitcnt lgkmcnt(3)
	v_mul_f32_e32 v21, v24, v16
	v_fma_f32 v21, v27, v15, -v21
	v_mul_f32_e32 v16, v27, v16
	v_fmac_f32_e32 v16, v24, v15
	v_and_or_b32 v15, v7, s1, v17
	v_and_or_b32 v17, v9, s2, v17
	v_sub_f32_e32 v13, v22, v13
	v_sub_f32_e32 v14, v26, v14
	;; [unrolled: 1-line block ×3, first 2 shown]
	s_waitcnt lgkmcnt(0)
	v_sub_f32_e32 v24, v20, v30
	v_lshl_add_u32 v17, v17, 2, 0
	v_sub_f32_e32 v27, v29, v31
	v_sub_f32_e32 v16, v28, v16
	v_fma_f32 v22, v22, 2.0, -v13
	v_fma_f32 v26, v26, 2.0, -v14
	v_fma_f32 v25, v25, 2.0, -v21
	v_fma_f32 v20, v20, 2.0, -v24
	v_lshl_add_u32 v15, v15, 2, 0
	s_barrier
	v_fma_f32 v29, v29, 2.0, -v27
	v_fma_f32 v28, v28, 2.0, -v16
	ds_write2_b32 v23, v22, v13 offset1:4
	ds_write2_b32 v15, v26, v14 offset1:4
	;; [unrolled: 1-line block ×3, first 2 shown]
	s_waitcnt lgkmcnt(0)
	s_barrier
	ds_read_b32 v22, v6
	ds_read_b32 v25, v10
	;; [unrolled: 1-line block ×3, first 2 shown]
	ds_read_b32 v30, v6 offset:4480
	ds_read2_b32 v[13:14], v11 offset1:224
	s_waitcnt lgkmcnt(0)
	s_barrier
	ds_write2_b32 v23, v20, v24 offset1:4
	ds_write2_b32 v15, v29, v27 offset1:4
	;; [unrolled: 1-line block ×3, first 2 shown]
	v_and_b32_e32 v17, 7, v18
	v_lshlrev_b32_e32 v15, 3, v17
	s_waitcnt lgkmcnt(0)
	s_barrier
	global_load_dwordx2 v[15:16], v15, s[12:13] offset:48
	ds_read2_b32 v[20:21], v11 offset1:224
	ds_read_b32 v24, v6 offset:4480
	s_movk_i32 s1, 0x3f0
	s_movk_i32 s2, 0x7f0
	v_and_b32_e32 v23, 15, v18
	s_waitcnt vmcnt(0) lgkmcnt(1)
	v_mul_f32_e32 v27, v20, v16
	v_mul_f32_e32 v28, v21, v16
	;; [unrolled: 1-line block ×4, first 2 shown]
	v_fma_f32 v13, v13, v15, -v27
	v_fma_f32 v14, v14, v15, -v28
	ds_read_b32 v27, v10
	ds_read_b32 v28, v8
	v_fmac_f32_e32 v29, v20, v15
	ds_read_b32 v20, v6
	v_fmac_f32_e32 v31, v21, v15
	s_waitcnt lgkmcnt(3)
	v_mul_f32_e32 v21, v24, v16
	v_fma_f32 v21, v30, v15, -v21
	v_mul_f32_e32 v16, v30, v16
	v_fmac_f32_e32 v16, v24, v15
	v_and_or_b32 v15, v5, s0, v17
	v_sub_f32_e32 v13, v22, v13
	v_sub_f32_e32 v14, v26, v14
	;; [unrolled: 1-line block ×3, first 2 shown]
	s_waitcnt lgkmcnt(0)
	v_sub_f32_e32 v29, v20, v29
	v_and_or_b32 v24, v7, s1, v17
	v_and_or_b32 v17, v9, s2, v17
	v_lshlrev_b32_e32 v30, 3, v23
	v_lshl_add_u32 v15, v15, 2, 0
	v_sub_f32_e32 v31, v28, v31
	v_sub_f32_e32 v16, v27, v16
	v_fma_f32 v22, v22, 2.0, -v13
	v_fma_f32 v26, v26, 2.0, -v14
	;; [unrolled: 1-line block ×4, first 2 shown]
	v_lshl_add_u32 v24, v24, 2, 0
	v_lshl_add_u32 v17, v17, 2, 0
	s_barrier
	v_fma_f32 v28, v28, 2.0, -v31
	v_fma_f32 v27, v27, 2.0, -v16
	ds_write2_b32 v15, v22, v13 offset1:8
	ds_write2_b32 v24, v26, v14 offset1:8
	;; [unrolled: 1-line block ×3, first 2 shown]
	s_waitcnt lgkmcnt(0)
	s_barrier
	ds_read_b32 v22, v6
	ds_read_b32 v25, v10
	;; [unrolled: 1-line block ×3, first 2 shown]
	ds_read_b32 v32, v6 offset:4480
	ds_read2_b32 v[13:14], v11 offset1:224
	s_waitcnt lgkmcnt(0)
	s_barrier
	ds_write2_b32 v15, v20, v29 offset1:8
	ds_write2_b32 v24, v28, v31 offset1:8
	;; [unrolled: 1-line block ×3, first 2 shown]
	s_waitcnt lgkmcnt(0)
	s_barrier
	global_load_dwordx2 v[15:16], v30, s[12:13] offset:112
	ds_read2_b32 v[20:21], v11 offset1:224
	ds_read_b32 v24, v6 offset:4480
	s_movk_i32 s0, 0x1e0
	s_movk_i32 s1, 0x3e0
	;; [unrolled: 1-line block ×3, first 2 shown]
	v_and_b32_e32 v17, 31, v18
	v_lshlrev_b32_e32 v31, 3, v17
	s_waitcnt vmcnt(0) lgkmcnt(1)
	v_mul_f32_e32 v27, v20, v16
	v_mul_f32_e32 v28, v21, v16
	;; [unrolled: 1-line block ×4, first 2 shown]
	v_fma_f32 v13, v13, v15, -v27
	v_fma_f32 v14, v14, v15, -v28
	ds_read_b32 v27, v10
	ds_read_b32 v28, v8
	v_fmac_f32_e32 v29, v20, v15
	ds_read_b32 v20, v6
	v_fmac_f32_e32 v30, v21, v15
	s_waitcnt lgkmcnt(3)
	v_mul_f32_e32 v21, v24, v16
	v_fma_f32 v21, v32, v15, -v21
	v_mul_f32_e32 v16, v32, v16
	v_fmac_f32_e32 v16, v24, v15
	v_and_or_b32 v15, v5, s0, v23
	v_sub_f32_e32 v13, v22, v13
	v_sub_f32_e32 v14, v26, v14
	;; [unrolled: 1-line block ×3, first 2 shown]
	s_waitcnt lgkmcnt(0)
	v_sub_f32_e32 v29, v20, v29
	v_and_or_b32 v24, v7, s1, v23
	v_and_or_b32 v23, v9, s2, v23
	v_lshl_add_u32 v15, v15, 2, 0
	v_sub_f32_e32 v30, v28, v30
	v_sub_f32_e32 v16, v27, v16
	v_fma_f32 v22, v22, 2.0, -v13
	v_fma_f32 v26, v26, 2.0, -v14
	;; [unrolled: 1-line block ×4, first 2 shown]
	v_lshl_add_u32 v24, v24, 2, 0
	v_lshl_add_u32 v23, v23, 2, 0
	s_barrier
	v_fma_f32 v28, v28, 2.0, -v30
	v_fma_f32 v27, v27, 2.0, -v16
	ds_write2_b32 v15, v22, v13 offset1:16
	ds_write2_b32 v24, v26, v14 offset1:16
	ds_write2_b32 v23, v25, v21 offset1:16
	s_waitcnt lgkmcnt(0)
	s_barrier
	ds_read_b32 v22, v6
	ds_read_b32 v25, v10
	;; [unrolled: 1-line block ×3, first 2 shown]
	ds_read_b32 v32, v6 offset:4480
	ds_read2_b32 v[13:14], v11 offset1:224
	s_waitcnt lgkmcnt(0)
	s_barrier
	ds_write2_b32 v15, v20, v29 offset1:16
	ds_write2_b32 v24, v28, v30 offset1:16
	ds_write2_b32 v23, v27, v16 offset1:16
	s_waitcnt lgkmcnt(0)
	s_barrier
	global_load_dwordx2 v[15:16], v31, s[12:13] offset:240
	ds_read2_b32 v[20:21], v11 offset1:224
	s_movk_i32 s0, 0x1c0
	s_movk_i32 s1, 0x3c0
	v_and_or_b32 v5, v5, s0, v17
	v_and_or_b32 v7, v7, s1, v17
	v_lshl_add_u32 v23, v5, 2, 0
	v_lshl_add_u32 v24, v7, 2, 0
	ds_read_b32 v5, v10
	ds_read_b32 v7, v8
	s_movk_i32 s2, 0x7c0
	v_and_b32_e32 v31, 63, v18
	v_and_or_b32 v9, v9, s2, v17
	v_lshlrev_b32_e32 v17, 4, v31
	v_lshl_add_u32 v9, v9, 2, 0
	s_movk_i32 s0, 0xc0
	s_waitcnt vmcnt(0) lgkmcnt(2)
	v_mul_f32_e32 v27, v20, v16
	v_mul_f32_e32 v28, v21, v16
	;; [unrolled: 1-line block ×3, first 2 shown]
	v_fma_f32 v13, v13, v15, -v27
	v_fma_f32 v27, v14, v15, -v28
	v_mul_f32_e32 v14, v14, v16
	v_fmac_f32_e32 v29, v20, v15
	v_fmac_f32_e32 v14, v21, v15
	ds_read_b32 v20, v6 offset:4480
	ds_read_b32 v21, v6
	v_sub_f32_e32 v13, v22, v13
	s_waitcnt lgkmcnt(2)
	v_sub_f32_e32 v14, v7, v14
	v_fma_f32 v22, v22, 2.0, -v13
	s_waitcnt lgkmcnt(1)
	v_mul_f32_e32 v28, v20, v16
	v_mul_f32_e32 v16, v32, v16
	v_fma_f32 v28, v32, v15, -v28
	v_fmac_f32_e32 v16, v20, v15
	v_sub_f32_e32 v15, v26, v27
	s_waitcnt lgkmcnt(0)
	v_sub_f32_e32 v27, v21, v29
	v_sub_f32_e32 v20, v25, v28
	;; [unrolled: 1-line block ×3, first 2 shown]
	v_fma_f32 v21, v21, 2.0, -v27
	s_barrier
	v_fma_f32 v26, v26, 2.0, -v15
	v_fma_f32 v25, v25, 2.0, -v20
	;; [unrolled: 1-line block ×4, first 2 shown]
	ds_write2_b32 v23, v22, v13 offset1:32
	ds_write2_b32 v24, v26, v15 offset1:32
	;; [unrolled: 1-line block ×3, first 2 shown]
	s_waitcnt lgkmcnt(0)
	s_barrier
	ds_read_b32 v13, v10
	ds_read_b32 v7, v8
	ds_read_b32 v33, v6 offset:4480
	ds_read_b32 v5, v6
	ds_read2_b32 v[29:30], v11 offset1:224
	s_waitcnt lgkmcnt(0)
	s_barrier
	ds_write2_b32 v23, v21, v27 offset1:32
	ds_write2_b32 v24, v28, v14 offset1:32
	ds_write2_b32 v9, v32, v16 offset1:32
	s_waitcnt lgkmcnt(0)
	s_barrier
	global_load_dwordx4 v[21:24], v17, s[12:13] offset:496
	v_and_b32_e32 v9, 63, v19
	v_lshlrev_b32_e32 v14, 4, v9
	global_load_dwordx4 v[25:28], v14, s[12:13] offset:496
	v_lshrrev_b32_e32 v15, 6, v19
	v_mul_lo_u32 v15, v15, s0
	v_add_u32_e32 v16, v0, v12
	ds_read_b32 v0, v10
	v_lshrrev_b32_e32 v14, 6, v18
	v_mul_u32_u24_e32 v14, 0xc0, v14
	v_or_b32_e32 v14, v14, v31
	v_or_b32_e32 v9, v15, v9
	v_lshl_add_u32 v19, v14, 2, 0
	v_lshl_add_u32 v20, v9, 2, 0
	ds_read2_b32 v[9:10], v11 offset1:224
	ds_read_b32 v15, v8
	v_cmp_gt_u32_e64 s[0:1], s0, v18
	s_waitcnt vmcnt(1)
	v_mul_f32_e32 v14, v13, v22
	s_waitcnt lgkmcnt(2)
	v_mul_f32_e32 v8, v0, v22
	v_fmac_f32_e32 v14, v0, v21
	ds_read_b32 v0, v6 offset:4480
	ds_read_b32 v11, v6
	v_fma_f32 v12, v13, v21, -v8
	s_waitcnt lgkmcnt(3)
	v_mul_f32_e32 v8, v10, v24
	v_mul_f32_e32 v24, v30, v24
	s_waitcnt vmcnt(0)
	v_mul_f32_e32 v6, v9, v26
	v_fma_f32 v22, v30, v23, -v8
	v_fmac_f32_e32 v24, v10, v23
	v_mul_f32_e32 v23, v29, v26
	v_fma_f32 v17, v29, v25, -v6
	s_waitcnt lgkmcnt(1)
	v_mul_f32_e32 v6, v0, v28
	v_fmac_f32_e32 v23, v9, v25
	v_fma_f32 v25, v33, v27, -v6
	v_mul_f32_e32 v26, v33, v28
	v_add_f32_e32 v6, v12, v22
	v_add_f32_e32 v9, v17, v25
	v_fmac_f32_e32 v26, v0, v27
	v_add_f32_e32 v0, v5, v12
	v_add_f32_e32 v8, v7, v17
	v_fmac_f32_e32 v5, -0.5, v6
	v_fmac_f32_e32 v7, -0.5, v9
	v_sub_f32_e32 v13, v14, v24
	v_sub_f32_e32 v21, v23, v26
	v_add_f32_e32 v9, v0, v22
	v_mov_b32_e32 v10, v5
	v_mov_b32_e32 v0, v7
	v_add_f32_e32 v6, v8, v25
	v_fmac_f32_e32 v5, 0xbf5db3d7, v13
	v_fmac_f32_e32 v7, 0xbf5db3d7, v21
	;; [unrolled: 1-line block ×4, first 2 shown]
	v_lshl_add_u32 v21, v18, 2, 0
	s_waitcnt lgkmcnt(0)
	s_barrier
	ds_write_b32 v19, v5 offset:512
	ds_write2st64_b32 v19, v9, v10 offset1:1
	ds_write2st64_b32 v20, v6, v0 offset1:1
	ds_write_b32 v20, v7 offset:512
	s_waitcnt lgkmcnt(0)
	s_barrier
	s_and_saveexec_b64 s[2:3], s[0:1]
	s_cbranch_execz .LBB0_15
; %bb.14:
	ds_read2st64_b32 v[9:10], v16 offset1:3
	ds_read2st64_b32 v[5:6], v16 offset0:6 offset1:9
	ds_read_b32 v0, v21 offset:3072
	ds_read2st64_b32 v[7:8], v16 offset0:15 offset1:18
.LBB0_15:
	s_or_b64 exec, exec, s[2:3]
	v_add_f32_e32 v13, v11, v14
	v_add_f32_e32 v14, v14, v24
	v_fmac_f32_e32 v11, -0.5, v14
	v_sub_f32_e32 v12, v12, v22
	v_mov_b32_e32 v14, v11
	v_add_f32_e32 v22, v23, v26
	v_fmac_f32_e32 v14, 0xbf5db3d7, v12
	v_fmac_f32_e32 v11, 0x3f5db3d7, v12
	v_add_f32_e32 v12, v15, v23
	v_fmac_f32_e32 v15, -0.5, v22
	v_sub_f32_e32 v22, v17, v25
	v_mov_b32_e32 v17, v15
	v_add_f32_e32 v13, v13, v24
	v_add_f32_e32 v12, v12, v26
	v_fmac_f32_e32 v17, 0xbf5db3d7, v22
	v_fmac_f32_e32 v15, 0x3f5db3d7, v22
	s_waitcnt lgkmcnt(0)
	s_barrier
	ds_write2st64_b32 v19, v13, v14 offset1:1
	ds_write_b32 v19, v11 offset:512
	ds_write2st64_b32 v20, v12, v17 offset1:1
	ds_write_b32 v20, v15 offset:512
	s_waitcnt lgkmcnt(0)
	s_barrier
	s_and_saveexec_b64 s[2:3], s[0:1]
	s_cbranch_execz .LBB0_17
; %bb.16:
	ds_read2st64_b32 v[13:14], v16 offset1:3
	ds_read2st64_b32 v[11:12], v16 offset0:6 offset1:9
	ds_read_b32 v17, v21 offset:3072
	ds_read2st64_b32 v[15:16], v16 offset0:15 offset1:18
.LBB0_17:
	s_or_b64 exec, exec, s[2:3]
	s_movk_i32 s2, 0xc0
	v_cmp_gt_u32_e64 s[2:3], s2, v18
	s_and_b64 s[2:3], vcc, s[2:3]
	s_and_saveexec_b64 s[6:7], s[2:3]
	s_cbranch_execz .LBB0_19
; %bb.18:
	v_add_u32_e32 v19, 0xffffff40, v18
	v_cndmask_b32_e64 v19, v19, v18, s[0:1]
	v_mul_i32_i24_e32 v19, 6, v19
	v_mov_b32_e32 v20, 0
	v_lshlrev_b64 v[19:20], 3, v[19:20]
	v_mov_b32_e32 v21, s13
	v_add_co_u32_e32 v26, vcc, s12, v19
	v_addc_co_u32_e32 v27, vcc, v21, v20, vcc
	global_load_dwordx4 v[19:22], v[26:27], off offset:1552
	s_mov_b32 s2, 0x3f5ff5aa
	s_waitcnt vmcnt(0) lgkmcnt(0)
	v_mul_f32_e32 v23, v16, v22
	v_mul_f32_e32 v24, v15, v20
	;; [unrolled: 1-line block ×3, first 2 shown]
	v_fma_f32 v8, v8, v21, -v23
	v_fma_f32 v31, v7, v19, -v24
	global_load_dwordx4 v[22:25], v[26:27], off offset:1536
	v_mul_f32_e32 v7, v7, v20
	global_load_dwordx4 v[26:29], v[26:27], off offset:1520
	v_fmac_f32_e32 v30, v16, v21
	v_fmac_f32_e32 v7, v15, v19
	v_mul_lo_u32 v15, s5, v3
	v_mul_lo_u32 v16, s4, v4
	v_mad_u64_u32 v[3:4], s[0:1], s4, v3, 0
	s_mov_b32 s0, 0xbeae86e6
	s_mov_b32 s1, 0x3f3bfb3b
	v_add3_u32 v4, v4, v16, v15
	v_lshlrev_b64 v[3:4], 3, v[3:4]
	v_add_co_u32_e32 v3, vcc, s10, v3
	s_waitcnt vmcnt(1)
	v_mul_f32_e32 v15, v17, v25
	v_mul_f32_e32 v19, v6, v23
	;; [unrolled: 1-line block ×4, first 2 shown]
	s_waitcnt vmcnt(0)
	v_mul_f32_e32 v21, v14, v27
	v_fma_f32 v0, v0, v24, -v15
	v_mul_f32_e32 v15, v11, v29
	v_fmac_f32_e32 v20, v17, v24
	v_mul_f32_e32 v17, v10, v27
	v_fmac_f32_e32 v19, v12, v22
	v_mul_f32_e32 v12, v5, v29
	v_fma_f32 v5, v5, v28, -v15
	v_fma_f32 v10, v10, v26, -v21
	v_fmac_f32_e32 v17, v14, v26
	v_fmac_f32_e32 v12, v11, v28
	v_fma_f32 v6, v6, v22, -v16
	v_sub_f32_e32 v11, v10, v8
	v_sub_f32_e32 v15, v5, v31
	v_add_f32_e32 v16, v17, v30
	v_add_f32_e32 v21, v20, v19
	;; [unrolled: 1-line block ×5, first 2 shown]
	v_sub_f32_e32 v14, v0, v6
	v_add_f32_e32 v0, v0, v6
	v_sub_f32_e32 v10, v20, v19
	v_sub_f32_e32 v7, v12, v7
	;; [unrolled: 1-line block ×4, first 2 shown]
	v_add_f32_e32 v23, v16, v22
	v_sub_f32_e32 v16, v22, v16
	v_add_f32_e32 v22, v8, v5
	v_sub_f32_e32 v6, v17, v30
	v_sub_f32_e32 v24, v8, v0
	;; [unrolled: 1-line block ×5, first 2 shown]
	v_add_f32_e32 v0, v0, v22
	v_sub_f32_e32 v12, v11, v14
	v_sub_f32_e32 v17, v14, v15
	v_add_f32_e32 v14, v14, v15
	v_sub_f32_e32 v8, v6, v10
	v_sub_f32_e32 v15, v15, v11
	v_add_f32_e32 v10, v10, v7
	v_sub_f32_e32 v27, v7, v6
	v_add_f32_e32 v7, v21, v23
	v_mul_f32_e32 v21, 0xbf08b237, v5
	v_add_f32_e32 v5, v9, v0
	v_mul_f32_e32 v20, 0x3d64c772, v20
	;; [unrolled: 2-line block ×3, first 2 shown]
	v_add_f32_e32 v6, v13, v7
	v_mov_b32_e32 v13, v5
	v_add_f32_e32 v11, v11, v14
	v_mul_f32_e32 v14, 0xbf08b237, v17
	v_mov_b32_e32 v9, v20
	v_fma_f32 v29, v12, s0, -v10
	v_mov_b32_e32 v10, v6
	v_fmac_f32_e32 v13, 0xbf955555, v0
	v_mul_f32_e32 v0, 0x3f5ff5aa, v27
	v_mul_f32_e32 v17, 0x3f4a47b2, v19
	v_mov_b32_e32 v23, v14
	v_fmac_f32_e32 v9, 0x3f4a47b2, v19
	v_fmac_f32_e32 v10, 0xbf955555, v7
	v_fma_f32 v19, v8, s0, -v0
	v_mul_f32_e32 v0, 0x3d64c772, v25
	s_mov_b32 s0, 0xbf3bfb3b
	v_fmac_f32_e32 v23, 0x3eae86e6, v12
	v_add_f32_e32 v30, v9, v10
	v_fma_f32 v9, v16, s0, -v17
	v_fma_f32 v12, v16, s1, -v20
	v_mov_b32_e32 v7, v0
	v_mul_f32_e32 v16, 0x3f4a47b2, v24
	v_fmac_f32_e32 v7, 0x3f4a47b2, v24
	v_add_f32_e32 v20, v9, v10
	v_fma_f32 v9, v26, s0, -v16
	v_fma_f32 v0, v26, s1, -v0
	v_add_f32_e32 v17, v7, v13
	v_fma_f32 v15, v15, s2, -v14
	v_add_f32_e32 v25, v9, v13
	v_add_f32_e32 v0, v0, v13
	v_mad_u64_u32 v[13:14], s[0:1], s20, v18, 0
	v_mov_b32_e32 v28, v21
	v_fma_f32 v21, v27, s2, -v21
	v_add_f32_e32 v24, v12, v10
	v_fmac_f32_e32 v15, 0x3ee1c552, v11
	v_fmac_f32_e32 v21, 0x3ee1c552, v22
	;; [unrolled: 1-line block ×5, first 2 shown]
	v_sub_f32_e32 v12, v24, v15
	v_add_f32_e32 v11, v21, v0
	v_add_f32_e32 v16, v15, v24
	v_sub_f32_e32 v15, v0, v21
	v_mov_b32_e32 v0, v14
	v_fmac_f32_e32 v28, 0x3ee1c552, v22
	v_fmac_f32_e32 v19, 0x3ee1c552, v22
	v_mad_u64_u32 v[21:22], s[0:1], s21, v18, v[0:1]
	v_mov_b32_e32 v0, s11
	v_addc_co_u32_e32 v4, vcc, v0, v4, vcc
	v_lshlrev_b64 v[0:1], 3, v[1:2]
	v_sub_f32_e32 v7, v17, v28
	v_add_f32_e32 v22, v28, v17
	v_add_co_u32_e32 v17, vcc, v3, v0
	v_mov_b32_e32 v14, v21
	v_addc_co_u32_e32 v21, vcc, v4, v1, vcc
	v_add_u32_e32 v4, 0xc0, v18
	v_mad_u64_u32 v[2:3], s[0:1], s20, v4, 0
	v_lshlrev_b64 v[0:1], 3, v[13:14]
	v_add_f32_e32 v8, v23, v30
	v_mad_u64_u32 v[3:4], s[0:1], s21, v4, v[3:4]
	v_add_u32_e32 v4, 0x180, v18
	v_mad_u64_u32 v[13:14], s[0:1], s20, v4, 0
	v_add_co_u32_e32 v0, vcc, v17, v0
	v_addc_co_u32_e32 v1, vcc, v21, v1, vcc
	global_store_dwordx2 v[0:1], v[5:6], off
	v_lshlrev_b64 v[0:1], 3, v[2:3]
	v_mov_b32_e32 v2, v14
	v_mad_u64_u32 v[2:3], s[0:1], s21, v4, v[2:3]
	v_add_u32_e32 v4, 0x240, v18
	v_add_co_u32_e32 v0, vcc, v17, v0
	v_mov_b32_e32 v14, v2
	v_mad_u64_u32 v[2:3], s[0:1], s20, v4, 0
	v_sub_f32_e32 v23, v30, v23
	v_addc_co_u32_e32 v1, vcc, v21, v1, vcc
	v_mad_u64_u32 v[3:4], s[0:1], s21, v4, v[3:4]
	v_or_b32_e32 v6, 0x300, v18
	global_store_dwordx2 v[0:1], v[22:23], off
	v_lshlrev_b64 v[0:1], 3, v[13:14]
	v_mad_u64_u32 v[4:5], s[0:1], s20, v6, 0
	v_add_co_u32_e32 v0, vcc, v17, v0
	v_add_f32_e32 v10, v29, v20
	v_sub_f32_e32 v9, v25, v19
	v_sub_f32_e32 v20, v20, v29
	v_add_f32_e32 v19, v19, v25
	v_addc_co_u32_e32 v1, vcc, v21, v1, vcc
	global_store_dwordx2 v[0:1], v[19:20], off
	v_lshlrev_b64 v[0:1], 3, v[2:3]
	v_mov_b32_e32 v2, v5
	v_mad_u64_u32 v[2:3], s[0:1], s21, v6, v[2:3]
	v_add_co_u32_e32 v0, vcc, v17, v0
	v_addc_co_u32_e32 v1, vcc, v21, v1, vcc
	v_mov_b32_e32 v5, v2
	global_store_dwordx2 v[0:1], v[15:16], off
	v_lshlrev_b64 v[0:1], 3, v[4:5]
	v_add_u32_e32 v4, 0x3c0, v18
	v_mad_u64_u32 v[2:3], s[0:1], s20, v4, 0
	v_add_u32_e32 v6, 0x480, v18
	v_add_co_u32_e32 v0, vcc, v17, v0
	v_mad_u64_u32 v[3:4], s[0:1], s21, v4, v[3:4]
	v_mad_u64_u32 v[4:5], s[0:1], s20, v6, 0
	v_addc_co_u32_e32 v1, vcc, v21, v1, vcc
	global_store_dwordx2 v[0:1], v[11:12], off
	v_lshlrev_b64 v[0:1], 3, v[2:3]
	v_mov_b32_e32 v2, v5
	v_mad_u64_u32 v[2:3], s[0:1], s21, v6, v[2:3]
	v_add_co_u32_e32 v0, vcc, v17, v0
	v_addc_co_u32_e32 v1, vcc, v21, v1, vcc
	v_mov_b32_e32 v5, v2
	global_store_dwordx2 v[0:1], v[9:10], off
	v_lshlrev_b64 v[0:1], 3, v[4:5]
	v_add_co_u32_e32 v0, vcc, v17, v0
	v_addc_co_u32_e32 v1, vcc, v21, v1, vcc
	global_store_dwordx2 v[0:1], v[7:8], off
.LBB0_19:
	s_endpgm
	.section	.rodata,"a",@progbits
	.p2align	6, 0x0
	.amdhsa_kernel fft_rtc_fwd_len1344_factors_2_2_2_2_2_2_3_7_wgs_224_tpt_224_halfLds_sp_op_CI_CI_sbrr_dirReg
		.amdhsa_group_segment_fixed_size 0
		.amdhsa_private_segment_fixed_size 0
		.amdhsa_kernarg_size 104
		.amdhsa_user_sgpr_count 6
		.amdhsa_user_sgpr_private_segment_buffer 1
		.amdhsa_user_sgpr_dispatch_ptr 0
		.amdhsa_user_sgpr_queue_ptr 0
		.amdhsa_user_sgpr_kernarg_segment_ptr 1
		.amdhsa_user_sgpr_dispatch_id 0
		.amdhsa_user_sgpr_flat_scratch_init 0
		.amdhsa_user_sgpr_private_segment_size 0
		.amdhsa_uses_dynamic_stack 0
		.amdhsa_system_sgpr_private_segment_wavefront_offset 0
		.amdhsa_system_sgpr_workgroup_id_x 1
		.amdhsa_system_sgpr_workgroup_id_y 0
		.amdhsa_system_sgpr_workgroup_id_z 0
		.amdhsa_system_sgpr_workgroup_info 0
		.amdhsa_system_vgpr_workitem_id 0
		.amdhsa_next_free_vgpr 34
		.amdhsa_next_free_sgpr 32
		.amdhsa_reserve_vcc 1
		.amdhsa_reserve_flat_scratch 0
		.amdhsa_float_round_mode_32 0
		.amdhsa_float_round_mode_16_64 0
		.amdhsa_float_denorm_mode_32 3
		.amdhsa_float_denorm_mode_16_64 3
		.amdhsa_dx10_clamp 1
		.amdhsa_ieee_mode 1
		.amdhsa_fp16_overflow 0
		.amdhsa_exception_fp_ieee_invalid_op 0
		.amdhsa_exception_fp_denorm_src 0
		.amdhsa_exception_fp_ieee_div_zero 0
		.amdhsa_exception_fp_ieee_overflow 0
		.amdhsa_exception_fp_ieee_underflow 0
		.amdhsa_exception_fp_ieee_inexact 0
		.amdhsa_exception_int_div_zero 0
	.end_amdhsa_kernel
	.text
.Lfunc_end0:
	.size	fft_rtc_fwd_len1344_factors_2_2_2_2_2_2_3_7_wgs_224_tpt_224_halfLds_sp_op_CI_CI_sbrr_dirReg, .Lfunc_end0-fft_rtc_fwd_len1344_factors_2_2_2_2_2_2_3_7_wgs_224_tpt_224_halfLds_sp_op_CI_CI_sbrr_dirReg
                                        ; -- End function
	.section	.AMDGPU.csdata,"",@progbits
; Kernel info:
; codeLenInByte = 5632
; NumSgprs: 36
; NumVgprs: 34
; ScratchSize: 0
; MemoryBound: 0
; FloatMode: 240
; IeeeMode: 1
; LDSByteSize: 0 bytes/workgroup (compile time only)
; SGPRBlocks: 4
; VGPRBlocks: 8
; NumSGPRsForWavesPerEU: 36
; NumVGPRsForWavesPerEU: 34
; Occupancy: 7
; WaveLimiterHint : 1
; COMPUTE_PGM_RSRC2:SCRATCH_EN: 0
; COMPUTE_PGM_RSRC2:USER_SGPR: 6
; COMPUTE_PGM_RSRC2:TRAP_HANDLER: 0
; COMPUTE_PGM_RSRC2:TGID_X_EN: 1
; COMPUTE_PGM_RSRC2:TGID_Y_EN: 0
; COMPUTE_PGM_RSRC2:TGID_Z_EN: 0
; COMPUTE_PGM_RSRC2:TIDIG_COMP_CNT: 0
	.type	__hip_cuid_a6010940339166bf,@object ; @__hip_cuid_a6010940339166bf
	.section	.bss,"aw",@nobits
	.globl	__hip_cuid_a6010940339166bf
__hip_cuid_a6010940339166bf:
	.byte	0                               ; 0x0
	.size	__hip_cuid_a6010940339166bf, 1

	.ident	"AMD clang version 19.0.0git (https://github.com/RadeonOpenCompute/llvm-project roc-6.4.0 25133 c7fe45cf4b819c5991fe208aaa96edf142730f1d)"
	.section	".note.GNU-stack","",@progbits
	.addrsig
	.addrsig_sym __hip_cuid_a6010940339166bf
	.amdgpu_metadata
---
amdhsa.kernels:
  - .args:
      - .actual_access:  read_only
        .address_space:  global
        .offset:         0
        .size:           8
        .value_kind:     global_buffer
      - .offset:         8
        .size:           8
        .value_kind:     by_value
      - .actual_access:  read_only
        .address_space:  global
        .offset:         16
        .size:           8
        .value_kind:     global_buffer
      - .actual_access:  read_only
        .address_space:  global
        .offset:         24
        .size:           8
        .value_kind:     global_buffer
      - .actual_access:  read_only
        .address_space:  global
        .offset:         32
        .size:           8
        .value_kind:     global_buffer
      - .offset:         40
        .size:           8
        .value_kind:     by_value
      - .actual_access:  read_only
        .address_space:  global
        .offset:         48
        .size:           8
        .value_kind:     global_buffer
      - .actual_access:  read_only
        .address_space:  global
        .offset:         56
        .size:           8
        .value_kind:     global_buffer
      - .offset:         64
        .size:           4
        .value_kind:     by_value
      - .actual_access:  read_only
        .address_space:  global
        .offset:         72
        .size:           8
        .value_kind:     global_buffer
      - .actual_access:  read_only
        .address_space:  global
        .offset:         80
        .size:           8
        .value_kind:     global_buffer
      - .actual_access:  read_only
        .address_space:  global
        .offset:         88
        .size:           8
        .value_kind:     global_buffer
      - .actual_access:  write_only
        .address_space:  global
        .offset:         96
        .size:           8
        .value_kind:     global_buffer
    .group_segment_fixed_size: 0
    .kernarg_segment_align: 8
    .kernarg_segment_size: 104
    .language:       OpenCL C
    .language_version:
      - 2
      - 0
    .max_flat_workgroup_size: 224
    .name:           fft_rtc_fwd_len1344_factors_2_2_2_2_2_2_3_7_wgs_224_tpt_224_halfLds_sp_op_CI_CI_sbrr_dirReg
    .private_segment_fixed_size: 0
    .sgpr_count:     36
    .sgpr_spill_count: 0
    .symbol:         fft_rtc_fwd_len1344_factors_2_2_2_2_2_2_3_7_wgs_224_tpt_224_halfLds_sp_op_CI_CI_sbrr_dirReg.kd
    .uniform_work_group_size: 1
    .uses_dynamic_stack: false
    .vgpr_count:     34
    .vgpr_spill_count: 0
    .wavefront_size: 64
amdhsa.target:   amdgcn-amd-amdhsa--gfx906
amdhsa.version:
  - 1
  - 2
...

	.end_amdgpu_metadata
